;; amdgpu-corpus repo=ROCm/rocFFT kind=compiled arch=gfx906 opt=O3
	.text
	.amdgcn_target "amdgcn-amd-amdhsa--gfx906"
	.amdhsa_code_object_version 6
	.protected	fft_rtc_fwd_len200_factors_8_5_5_wgs_400_tpt_40_half_op_CI_CI_sbrc_unaligned_dirReg ; -- Begin function fft_rtc_fwd_len200_factors_8_5_5_wgs_400_tpt_40_half_op_CI_CI_sbrc_unaligned_dirReg
	.globl	fft_rtc_fwd_len200_factors_8_5_5_wgs_400_tpt_40_half_op_CI_CI_sbrc_unaligned_dirReg
	.p2align	8
	.type	fft_rtc_fwd_len200_factors_8_5_5_wgs_400_tpt_40_half_op_CI_CI_sbrc_unaligned_dirReg,@function
fft_rtc_fwd_len200_factors_8_5_5_wgs_400_tpt_40_half_op_CI_CI_sbrc_unaligned_dirReg: ; @fft_rtc_fwd_len200_factors_8_5_5_wgs_400_tpt_40_half_op_CI_CI_sbrc_unaligned_dirReg
; %bb.0:
	s_load_dwordx8 s[8:15], s[4:5], 0x0
	s_mov_b32 s34, 0
	s_mov_b32 s30, 3
	s_mov_b64 s[36:37], 2
	s_mov_b32 s40, s34
	s_waitcnt lgkmcnt(0)
	s_load_dword s33, s[12:13], 0x8
	s_load_dwordx4 s[20:23], s[4:5], 0x58
	s_load_dwordx2 s[28:29], s[4:5], 0x20
	s_load_dwordx4 s[24:27], s[14:15], 0x0
	s_waitcnt lgkmcnt(0)
	s_add_i32 s0, s33, -1
	s_mul_hi_u32 s0, s0, 0xcccccccd
	s_lshr_b32 s0, s0, 3
	s_add_i32 s7, s0, 1
	v_cvt_f32_u32_e32 v1, s7
	s_sub_i32 s2, 0, s7
	s_load_dwordx4 s[16:19], s[28:29], 0x0
	v_cmp_gt_u64_e64 s[0:1], s[10:11], 2
	v_rcp_iflag_f32_e32 v1, v1
	v_mul_f32_e32 v1, 0x4f7ffffe, v1
	v_cvt_u32_f32_e32 v1, v1
	v_readfirstlane_b32 s3, v1
	s_mul_i32 s2, s2, s3
	s_mul_hi_u32 s2, s3, s2
	s_add_i32 s3, s3, s2
	s_mul_hi_u32 s2, s6, s3
	s_mul_i32 s3, s2, s7
	s_sub_i32 s3, s6, s3
	s_add_i32 s4, s2, 1
	s_sub_i32 s5, s3, s7
	s_cmp_ge_u32 s3, s7
	s_cselect_b32 s2, s4, s2
	s_cselect_b32 s3, s5, s3
	s_add_i32 s4, s2, 1
	s_cmp_ge_u32 s3, s7
	s_waitcnt lgkmcnt(0)
	s_cselect_b32 s19, s4, s2
	s_mul_i32 s2, s19, s7
	s_sub_i32 s27, s6, s2
	s_mul_i32 s27, s27, 10
	s_mul_i32 s3, s17, s27
	s_mul_hi_u32 s4, s16, s27
	s_mul_i32 s41, s27, s26
	s_mul_i32 s2, s16, s27
	s_add_i32 s3, s4, s3
	s_and_b64 vcc, exec, s[0:1]
	s_cbranch_vccz .LBB0_9
; %bb.1:
	v_mov_b32_e32 v1, s10
	v_mov_b32_e32 v2, s11
.LBB0_2:                                ; =>This Inner Loop Header: Depth=1
	s_lshl_b64 s[4:5], s[36:37], 3
	s_add_u32 s0, s12, s4
	s_addc_u32 s1, s13, s5
	s_load_dwordx2 s[36:37], s[0:1], 0x0
	s_waitcnt lgkmcnt(0)
	s_mov_b32 s35, s37
	s_cmp_lg_u64 s[34:35], 0
	s_cbranch_scc0 .LBB0_7
; %bb.3:                                ;   in Loop: Header=BB0_2 Depth=1
	v_cvt_f32_u32_e32 v3, s36
	v_cvt_f32_u32_e32 v4, s37
	s_sub_u32 s0, 0, s36
	s_subb_u32 s1, 0, s37
	v_mac_f32_e32 v3, 0x4f800000, v4
	v_rcp_f32_e32 v3, v3
	v_mul_f32_e32 v3, 0x5f7ffffc, v3
	v_mul_f32_e32 v4, 0x2f800000, v3
	v_trunc_f32_e32 v4, v4
	v_mac_f32_e32 v3, 0xcf800000, v4
	v_cvt_u32_f32_e32 v4, v4
	v_cvt_u32_f32_e32 v3, v3
	v_readfirstlane_b32 s31, v4
	v_readfirstlane_b32 s35, v3
	s_mul_i32 s38, s0, s31
	s_mul_hi_u32 s42, s0, s35
	s_mul_i32 s39, s1, s35
	s_add_i32 s38, s42, s38
	s_mul_i32 s43, s0, s35
	s_add_i32 s38, s38, s39
	s_mul_hi_u32 s39, s35, s38
	s_mul_i32 s42, s35, s38
	s_mul_hi_u32 s35, s35, s43
	s_add_u32 s35, s35, s42
	s_addc_u32 s39, 0, s39
	s_mul_hi_u32 s44, s31, s43
	s_mul_i32 s43, s31, s43
	s_add_u32 s35, s35, s43
	s_mul_hi_u32 s42, s31, s38
	s_addc_u32 s35, s39, s44
	s_addc_u32 s39, s42, 0
	s_mul_i32 s38, s31, s38
	s_add_u32 s35, s35, s38
	s_addc_u32 s38, 0, s39
	v_add_co_u32_e32 v3, vcc, s35, v3
	s_cmp_lg_u64 vcc, 0
	s_addc_u32 s31, s31, s38
	v_readfirstlane_b32 s38, v3
	s_mul_i32 s35, s0, s31
	s_mul_hi_u32 s39, s0, s38
	s_add_i32 s35, s39, s35
	s_mul_i32 s1, s1, s38
	s_add_i32 s35, s35, s1
	s_mul_i32 s0, s0, s38
	s_mul_hi_u32 s39, s31, s0
	s_mul_i32 s42, s31, s0
	s_mul_i32 s44, s38, s35
	s_mul_hi_u32 s0, s38, s0
	s_mul_hi_u32 s43, s38, s35
	s_add_u32 s0, s0, s44
	s_addc_u32 s38, 0, s43
	s_add_u32 s0, s0, s42
	s_mul_hi_u32 s1, s31, s35
	s_addc_u32 s0, s38, s39
	s_addc_u32 s1, s1, 0
	s_mul_i32 s35, s31, s35
	s_add_u32 s0, s0, s35
	s_addc_u32 s1, 0, s1
	v_add_co_u32_e32 v3, vcc, s0, v3
	s_cmp_lg_u64 vcc, 0
	s_addc_u32 s0, s31, s1
	v_readfirstlane_b32 s31, v3
	s_mul_hi_u32 s1, s19, s0
	s_mul_i32 s0, s19, s0
	s_mul_hi_u32 s31, s19, s31
	s_add_u32 s0, s31, s0
	s_addc_u32 s31, 0, s1
	s_mul_i32 s0, s37, s31
	s_mul_hi_u32 s1, s36, s31
	s_add_i32 s35, s1, s0
	s_mul_i32 s1, s36, s31
	v_mov_b32_e32 v3, s1
	s_sub_i32 s0, 0, s35
	v_sub_co_u32_e32 v3, vcc, s19, v3
	s_cmp_lg_u64 vcc, 0
	s_subb_u32 s38, s0, s37
	v_subrev_co_u32_e64 v4, s[0:1], s36, v3
	s_cmp_lg_u64 s[0:1], 0
	s_subb_u32 s0, s38, 0
	s_cmp_ge_u32 s0, s37
	v_readfirstlane_b32 s38, v4
	s_cselect_b32 s1, -1, 0
	s_cmp_ge_u32 s38, s36
	s_cselect_b32 s38, -1, 0
	s_cmp_eq_u32 s0, s37
	s_cselect_b32 s0, s38, s1
	s_add_u32 s1, s31, 1
	s_addc_u32 s38, 0, 0
	s_add_u32 s39, s31, 2
	s_addc_u32 s42, 0, 0
	s_cmp_lg_u32 s0, 0
	s_cselect_b32 s0, s39, s1
	s_cselect_b32 s1, s42, s38
	s_cmp_lg_u64 vcc, 0
	s_subb_u32 s35, 0, s35
	s_cmp_ge_u32 s35, s37
	v_readfirstlane_b32 s39, v3
	s_cselect_b32 s38, -1, 0
	s_cmp_ge_u32 s39, s36
	s_cselect_b32 s39, -1, 0
	s_cmp_eq_u32 s35, s37
	s_cselect_b32 s35, s39, s38
	s_cmp_lg_u32 s35, 0
	s_cselect_b32 s1, s1, 0
	s_cselect_b32 s0, s0, s31
	s_cbranch_execnz .LBB0_5
.LBB0_4:                                ;   in Loop: Header=BB0_2 Depth=1
	v_cvt_f32_u32_e32 v3, s36
	s_sub_i32 s0, 0, s36
	v_rcp_iflag_f32_e32 v3, v3
	v_mul_f32_e32 v3, 0x4f7ffffe, v3
	v_cvt_u32_f32_e32 v3, v3
	v_readfirstlane_b32 s1, v3
	s_mul_i32 s0, s0, s1
	s_mul_hi_u32 s0, s1, s0
	s_add_i32 s1, s1, s0
	s_mul_hi_u32 s0, s19, s1
	s_mul_i32 s31, s0, s36
	s_sub_i32 s31, s19, s31
	s_add_i32 s1, s0, 1
	s_sub_i32 s35, s31, s36
	s_cmp_ge_u32 s31, s36
	s_cselect_b32 s0, s1, s0
	s_cselect_b32 s31, s35, s31
	s_add_i32 s1, s0, 1
	s_cmp_ge_u32 s31, s36
	s_cselect_b32 s0, s1, s0
	s_mov_b32 s1, s34
.LBB0_5:                                ;   in Loop: Header=BB0_2 Depth=1
	s_mul_i32 s31, s0, s37
	s_mul_hi_u32 s35, s0, s36
	s_add_i32 s31, s35, s31
	s_mul_i32 s1, s1, s36
	s_add_i32 s31, s31, s1
	s_mul_i32 s1, s0, s36
	s_sub_u32 s1, s19, s1
	s_subb_u32 s19, 0, s31
	s_add_u32 s38, s14, s4
	s_addc_u32 s39, s15, s5
	s_load_dwordx2 s[38:39], s[38:39], 0x0
	s_mul_i32 s7, s7, s36
	s_waitcnt lgkmcnt(0)
	s_mul_i32 s31, s38, s19
	s_mul_hi_u32 s35, s38, s1
	s_add_i32 s31, s35, s31
	s_mul_i32 s35, s39, s1
	s_add_i32 s31, s31, s35
	s_mul_i32 s35, s38, s1
	s_add_u32 s41, s35, s41
	s_addc_u32 s40, s31, s40
	s_add_u32 s4, s28, s4
	s_addc_u32 s5, s29, s5
	s_load_dwordx2 s[4:5], s[4:5], 0x0
	s_waitcnt lgkmcnt(0)
	s_mul_i32 s19, s4, s19
	s_mul_hi_u32 s31, s4, s1
	s_add_i32 s19, s31, s19
	s_mul_i32 s5, s5, s1
	s_mov_b32 s31, s34
	s_add_i32 s19, s19, s5
	s_mul_i32 s1, s4, s1
	v_cmp_ge_u64_e32 vcc, s[30:31], v[1:2]
	s_add_u32 s2, s1, s2
	s_addc_u32 s3, s19, s3
	s_mov_b64 s[36:37], s[30:31]
	s_add_i32 s30, s30, 1
	s_cbranch_vccnz .LBB0_8
; %bb.6:                                ;   in Loop: Header=BB0_2 Depth=1
	s_mov_b32 s19, s0
	s_branch .LBB0_2
.LBB0_7:                                ;   in Loop: Header=BB0_2 Depth=1
                                        ; implicit-def: $sgpr0_sgpr1
	s_branch .LBB0_4
.LBB0_8:
	v_cvt_f32_u32_e32 v1, s7
	s_sub_i32 s0, 0, s7
	v_rcp_iflag_f32_e32 v1, v1
	v_mul_f32_e32 v1, 0x4f7ffffe, v1
	v_cvt_u32_f32_e32 v1, v1
	v_readfirstlane_b32 s1, v1
	s_mul_i32 s0, s0, s1
	s_mul_hi_u32 s0, s1, s0
	s_add_i32 s1, s1, s0
	s_mul_hi_u32 s0, s6, s1
	s_mul_i32 s1, s0, s7
	s_sub_i32 s1, s6, s1
	s_add_i32 s4, s0, 1
	s_sub_i32 s5, s1, s7
	s_cmp_ge_u32 s1, s7
	s_cselect_b32 s0, s4, s0
	s_cselect_b32 s1, s5, s1
	s_add_i32 s4, s0, 1
	s_cmp_ge_u32 s1, s7
	s_cselect_b32 s19, s4, s0
.LBB0_9:
	s_lshl_b64 s[0:1], s[10:11], 3
	s_add_u32 s4, s14, s0
	s_addc_u32 s5, s15, s1
	s_load_dwordx2 s[4:5], s[4:5], 0x0
	v_mul_u32_u24_e32 v1, 0x148, v0
	v_lshrrev_b32_e32 v3, 16, v1
	v_mul_lo_u16_e32 v1, 0xc8, v3
	v_sub_u16_e32 v4, v0, v1
	s_waitcnt lgkmcnt(0)
	s_mul_i32 s5, s5, s19
	s_mul_hi_u32 s6, s4, s19
	s_mul_i32 s4, s4, s19
	s_add_i32 s5, s6, s5
	s_add_u32 s6, s4, s41
	s_addc_u32 s7, s5, s40
	s_add_u32 s0, s28, s0
	s_addc_u32 s1, s29, s1
	s_load_dwordx2 s[0:1], s[0:1], 0x0
	s_add_i32 s4, s27, 10
	s_cmp_le_u32 s4, s33
	s_cselect_b64 s[4:5], -1, 0
	s_mov_b64 s[10:11], -1
	s_and_b64 vcc, exec, s[4:5]
	s_cbranch_vccnz .LBB0_14
; %bb.10:
	v_add_u32_e32 v5, s27, v3
	v_cmp_gt_u32_e32 vcc, s33, v5
	s_and_saveexec_b64 s[10:11], vcc
	s_cbranch_execz .LBB0_13
; %bb.11:
	v_mad_u64_u32 v[1:2], s[12:13], s24, v4, 0
	s_lshl_b64 s[12:13], s[6:7], 2
	s_add_u32 s12, s20, s12
	v_mad_u64_u32 v[6:7], s[14:15], s25, v4, v[2:3]
	s_addc_u32 s13, s21, s13
	v_mov_b32_e32 v7, s13
	v_mov_b32_e32 v2, v6
	v_lshlrev_b64 v[1:2], 2, v[1:2]
	s_lshl_b32 s14, s26, 1
	v_add_co_u32_e32 v6, vcc, s12, v1
	v_addc_co_u32_e32 v7, vcc, v7, v2, vcc
	v_mul_u32_u24_e32 v1, 40, v4
	v_lshlrev_b32_e32 v2, 2, v3
	v_add3_u32 v8, v1, v2, 0
	v_mul_lo_u32 v1, v3, s26
	s_mov_b64 s[12:13], 0
	v_mov_b32_e32 v2, 0
.LBB0_12:                               ; =>This Inner Loop Header: Depth=1
	v_lshlrev_b64 v[9:10], 2, v[1:2]
	v_add_u32_e32 v5, 2, v5
	v_add_co_u32_e32 v9, vcc, v6, v9
	v_addc_co_u32_e32 v10, vcc, v7, v10, vcc
	global_load_dword v9, v[9:10], off
	v_cmp_le_u32_e32 vcc, s33, v5
	v_add_u32_e32 v1, s14, v1
	s_or_b64 s[12:13], vcc, s[12:13]
	s_waitcnt vmcnt(0)
	ds_write_b32 v8, v9
	v_add_u32_e32 v8, 8, v8
	s_andn2_b64 exec, exec, s[12:13]
	s_cbranch_execnz .LBB0_12
.LBB0_13:
	s_or_b64 exec, exec, s[10:11]
	s_mov_b64 s[10:11], 0
.LBB0_14:
	s_andn2_b64 vcc, exec, s[10:11]
	s_cbranch_vccnz .LBB0_16
; %bb.15:
	v_mad_u64_u32 v[1:2], s[10:11], s24, v4, 0
	v_mul_lo_u32 v5, s26, v3
	s_lshl_b64 s[6:7], s[6:7], 2
	v_mad_u64_u32 v[7:8], s[10:11], s25, v4, v[2:3]
	s_add_u32 s6, s20, s6
	s_addc_u32 s7, s21, s7
	v_mov_b32_e32 v2, v7
	v_lshlrev_b64 v[1:2], 2, v[1:2]
	v_mov_b32_e32 v6, 0
	v_mov_b32_e32 v7, s7
	v_add_co_u32_e32 v13, vcc, s6, v1
	v_addc_co_u32_e32 v14, vcc, v7, v2, vcc
	v_lshlrev_b64 v[1:2], 2, v[5:6]
	s_lshl_b32 s6, s26, 1
	v_add_u32_e32 v5, s6, v5
	v_add_co_u32_e32 v1, vcc, v13, v1
	v_lshlrev_b64 v[7:8], 2, v[5:6]
	v_addc_co_u32_e32 v2, vcc, v14, v2, vcc
	v_add_u32_e32 v5, s6, v5
	v_add_co_u32_e32 v7, vcc, v13, v7
	v_lshlrev_b64 v[9:10], 2, v[5:6]
	v_addc_co_u32_e32 v8, vcc, v14, v8, vcc
	;; [unrolled: 4-line block ×4, first 2 shown]
	v_add_co_u32_e32 v5, vcc, v13, v5
	v_addc_co_u32_e32 v6, vcc, v14, v6, vcc
	global_load_dword v13, v[1:2], off
	global_load_dword v14, v[7:8], off
	;; [unrolled: 1-line block ×5, first 2 shown]
	v_mul_u32_u24_e32 v1, 40, v4
	v_lshlrev_b32_e32 v2, 2, v3
	v_add3_u32 v1, 0, v1, v2
	s_waitcnt vmcnt(3)
	ds_write2_b32 v1, v13, v14 offset1:2
	s_waitcnt vmcnt(1)
	ds_write2_b32 v1, v15, v16 offset0:4 offset1:6
	s_waitcnt vmcnt(0)
	ds_write_b32 v1, v17 offset:32
.LBB0_16:
	s_movk_i32 s6, 0x199a
	v_mul_u32_u24_sdwa v1, v0, s6 dst_sel:DWORD dst_unused:UNUSED_PAD src0_sel:WORD_0 src1_sel:DWORD
	s_mov_b32 s6, 0x1999999a
	v_mul_hi_u32 v11, v0, s6
	v_mov_b32_e32 v2, 10
	v_mul_lo_u16_sdwa v1, v1, v2 dst_sel:DWORD dst_unused:UNUSED_PAD src0_sel:WORD_1 src1_sel:DWORD
	v_sub_u16_e32 v9, v0, v1
	v_mad_u32_u24 v13, v11, 40, 0
	v_lshl_add_u32 v10, v9, 2, v13
	v_add_u32_e32 v1, 0x7c0, v10
	v_add_u32_e32 v5, 0xfa0, v10
	;; [unrolled: 1-line block ×3, first 2 shown]
	s_waitcnt lgkmcnt(0)
	s_barrier
	ds_read2_b32 v[3:4], v10 offset1:250
	ds_read2_b32 v[1:2], v1 offset0:4 offset1:254
	ds_read2_b32 v[5:6], v5 offset1:250
	ds_read2_b32 v[7:8], v7 offset0:4 offset1:254
	s_movk_i32 s6, 0xfa
	v_cmp_gt_u32_e32 vcc, s6, v0
	v_lshlrev_b32_e32 v12, 2, v9
	s_waitcnt lgkmcnt(0)
	s_barrier
	s_and_saveexec_b64 s[6:7], vcc
	s_cbranch_execz .LBB0_18
; %bb.17:
	v_pk_add_f16 v5, v3, v5 neg_lo:[0,1] neg_hi:[0,1]
	v_pk_add_f16 v7, v1, v7 neg_lo:[0,1] neg_hi:[0,1]
	;; [unrolled: 1-line block ×4, first 2 shown]
	v_sub_f16_sdwa v14, v5, v7 dst_sel:DWORD dst_unused:UNUSED_PAD src0_sel:DWORD src1_sel:WORD_1
	v_sub_f16_sdwa v15, v6, v8 dst_sel:DWORD dst_unused:UNUSED_PAD src0_sel:DWORD src1_sel:WORD_1
	s_movk_i32 s10, 0x39a8
	v_lshrrev_b32_e32 v17, 16, v6
	v_lshrrev_b32_e32 v19, 16, v5
	v_fma_f16 v16, v15, s10, v14
	v_add_f16_e32 v18, v17, v8
	s_mov_b32 s11, 0xb9a8
	v_add_f16_e32 v20, v19, v7
	v_fma_f16 v16, v18, s11, v16
	v_fma_f16 v17, v17, 2.0, -v18
	v_fma_f16 v18, v18, s10, v20
	v_fma_f16 v18, v15, s10, v18
	v_fma_f16 v15, v6, 2.0, -v15
	v_pk_fma_f16 v3, v3, 2.0, v5 op_sel_hi:[1,0,1] neg_lo:[0,0,1] neg_hi:[0,0,1]
	v_fma_f16 v5, v5, 2.0, -v14
	v_pk_fma_f16 v1, v1, 2.0, v7 op_sel_hi:[1,0,1] neg_lo:[0,0,1] neg_hi:[0,0,1]
	v_pk_fma_f16 v4, v4, 2.0, v6 op_sel_hi:[1,0,1] neg_lo:[0,0,1] neg_hi:[0,0,1]
	v_fma_f16 v6, v15, s11, v5
	v_fma_f16 v19, v19, 2.0, -v20
	v_pk_add_f16 v1, v3, v1 neg_lo:[0,1] neg_hi:[0,1]
	v_pk_fma_f16 v2, v2, 2.0, v8 op_sel_hi:[1,0,1] neg_lo:[0,0,1] neg_hi:[0,0,1]
	v_fma_f16 v6, v17, s11, v6
	v_fma_f16 v17, v17, s11, v19
	v_pk_add_f16 v2, v4, v2 neg_lo:[0,1] neg_hi:[0,1]
	v_alignbit_b32 v8, s0, v1, 16
	v_fma_f16 v15, v15, s10, v17
	v_alignbit_b32 v7, s0, v2, 16
	v_pk_add_f16 v8, v8, v2
	v_pk_fma_f16 v2, v4, 2.0, v2 op_sel_hi:[1,0,1] neg_lo:[0,0,1] neg_hi:[0,0,1]
	v_pk_fma_f16 v3, v3, 2.0, v1 op_sel_hi:[1,0,1] neg_lo:[0,0,1] neg_hi:[0,0,1]
	v_mul_u32_u24_e32 v17, 0x118, v11
	v_fma_f16 v5, v5, 2.0, -v6
	v_fma_f16 v19, v19, 2.0, -v15
	v_pk_add_f16 v7, v1, v7 neg_lo:[0,1] neg_hi:[0,1]
	v_lshrrev_b32_e32 v4, 16, v1
	v_pk_add_f16 v2, v3, v2 neg_lo:[0,1] neg_hi:[0,1]
	v_add3_u32 v13, v13, v17, v12
	v_fma_f16 v14, v14, 2.0, -v16
	v_fma_f16 v17, v20, 2.0, -v18
	;; [unrolled: 1-line block ×4, first 2 shown]
	v_pk_fma_f16 v3, v3, 2.0, v2 op_sel_hi:[1,0,1] neg_lo:[0,0,1] neg_hi:[0,0,1]
	v_pack_b32_f16 v5, v5, v19
	ds_write2_b32 v13, v3, v5 offset1:10
	v_pack_b32_f16 v1, v1, v4
	v_pack_b32_f16 v3, v14, v17
	ds_write2_b32 v13, v1, v3 offset0:20 offset1:30
	v_pack_b32_f16 v1, v6, v15
	ds_write2_b32 v13, v2, v1 offset0:40 offset1:50
	v_pack_b32_f16 v1, v7, v8
	v_pack_b32_f16 v2, v16, v18
	ds_write2_b32 v13, v1, v2 offset0:60 offset1:70
.LBB0_18:
	s_or_b64 exec, exec, s[6:7]
	v_and_b32_e32 v5, 7, v11
	v_lshlrev_b32_e32 v1, 4, v5
	s_waitcnt lgkmcnt(0)
	s_barrier
	global_load_dwordx4 v[1:4], v1, s[8:9]
	ds_read_b32 v6, v10
	ds_read_u16 v7, v10 offset:2
	ds_read_b32 v8, v10 offset:1600
	ds_read_b32 v13, v10 offset:3200
	;; [unrolled: 1-line block ×4, first 2 shown]
	s_movk_i32 s10, 0x3b9c
	s_waitcnt lgkmcnt(3)
	v_lshrrev_b32_e32 v16, 16, v8
	s_waitcnt lgkmcnt(2)
	v_lshrrev_b32_e32 v17, 16, v13
	;; [unrolled: 2-line block ×4, first 2 shown]
	s_mov_b32 s12, 0xbb9c
	s_movk_i32 s7, 0x38b4
	s_mov_b32 s11, 0xb8b4
	s_movk_i32 s6, 0x34f2
	s_waitcnt vmcnt(0)
	s_barrier
	v_mul_f16_sdwa v20, v1, v16 dst_sel:DWORD dst_unused:UNUSED_PAD src0_sel:WORD_1 src1_sel:DWORD
	v_mul_f16_sdwa v21, v1, v8 dst_sel:DWORD dst_unused:UNUSED_PAD src0_sel:WORD_1 src1_sel:DWORD
	;; [unrolled: 1-line block ×4, first 2 shown]
	v_fma_f16 v8, v1, v8, -v20
	v_fma_f16 v1, v1, v16, v21
	v_mul_f16_sdwa v16, v4, v19 dst_sel:DWORD dst_unused:UNUSED_PAD src0_sel:WORD_1 src1_sel:DWORD
	v_mul_f16_sdwa v23, v2, v13 dst_sel:DWORD dst_unused:UNUSED_PAD src0_sel:WORD_1 src1_sel:DWORD
	;; [unrolled: 1-line block ×3, first 2 shown]
	v_fma_f16 v13, v2, v13, -v22
	v_mul_f16_sdwa v21, v4, v15 dst_sel:DWORD dst_unused:UNUSED_PAD src0_sel:WORD_1 src1_sel:DWORD
	v_fma_f16 v14, v3, v14, -v24
	v_fma_f16 v15, v4, v15, -v16
	v_fma_f16 v2, v2, v17, v23
	v_fma_f16 v3, v3, v18, v20
	;; [unrolled: 1-line block ×3, first 2 shown]
	v_add_f16_e32 v17, v13, v14
	v_sub_f16_e32 v20, v8, v13
	v_sub_f16_e32 v21, v15, v14
	v_add_f16_e32 v22, v8, v15
	v_sub_f16_e32 v23, v13, v8
	v_sub_f16_e32 v24, v14, v15
	v_add_f16_e32 v16, v8, v6
	v_add_f16_e32 v20, v20, v21
	;; [unrolled: 1-line block ×3, first 2 shown]
	v_fma_f16 v17, v17, -0.5, v6
	v_fma_f16 v6, v22, -0.5, v6
	v_sub_f16_e32 v22, v1, v2
	v_add_f16_e32 v23, v23, v24
	v_sub_f16_e32 v24, v4, v3
	v_sub_f16_e32 v18, v1, v4
	;; [unrolled: 1-line block ×3, first 2 shown]
	v_add_f16_e32 v22, v22, v24
	v_add_f16_e32 v24, v2, v3
	;; [unrolled: 1-line block ×3, first 2 shown]
	v_sub_f16_e32 v2, v2, v1
	v_add_f16_e32 v1, v1, v4
	v_add_f16_e32 v16, v16, v13
	v_fma_f16 v24, v24, -0.5, v7
	v_fma_f16 v1, v1, -0.5, v7
	v_sub_f16_e32 v7, v3, v4
	v_sub_f16_e32 v13, v13, v14
	v_add_f16_e32 v2, v2, v7
	v_add_f16_e32 v7, v16, v14
	v_sub_f16_e32 v8, v8, v15
	v_add_f16_e32 v7, v7, v15
	v_fma_f16 v15, v13, s10, v1
	v_fma_f16 v1, v13, s12, v1
	;; [unrolled: 1-line block ×6, first 2 shown]
	v_lshrrev_b32_e32 v2, 3, v11
	v_fma_f16 v14, v18, s10, v17
	v_add_f16_e32 v3, v21, v3
	v_fma_f16 v21, v8, s12, v24
	v_mul_u32_u24_e32 v2, 40, v2
	v_fma_f16 v16, v18, s12, v17
	v_fma_f16 v17, v19, s12, v6
	;; [unrolled: 1-line block ×4, first 2 shown]
	v_add_f16_e32 v3, v3, v4
	v_fma_f16 v4, v13, s11, v21
	v_or_b32_e32 v2, v2, v5
	v_fma_f16 v24, v8, s10, v24
	v_fma_f16 v17, v18, s7, v17
	;; [unrolled: 1-line block ×5, first 2 shown]
	v_mul_u32_u24_e32 v2, 40, v2
	v_fma_f16 v16, v19, s11, v16
	v_fma_f16 v18, v13, s7, v24
	;; [unrolled: 1-line block ×4, first 2 shown]
	v_add3_u32 v2, 0, v2, v12
	v_pack_b32_f16 v3, v7, v3
	v_pack_b32_f16 v4, v14, v4
	v_fma_f16 v16, v20, s6, v16
	v_fma_f16 v18, v22, s6, v18
	ds_write2_b32 v2, v3, v4 offset1:80
	v_pack_b32_f16 v3, v17, v15
	v_pack_b32_f16 v1, v6, v1
	ds_write2_b32 v2, v3, v1 offset0:160 offset1:240
	v_pack_b32_f16 v1, v16, v18
	ds_write_b32 v2, v1 offset:1280
	v_add_u32_e32 v1, s27, v9
	v_cmp_gt_u32_e32 vcc, s33, v1
	s_or_b64 s[4:5], s[4:5], vcc
	s_waitcnt lgkmcnt(0)
	s_barrier
	s_and_saveexec_b64 s[14:15], s[4:5]
	s_cbranch_execz .LBB0_20
; %bb.19:
	s_mov_b32 s4, 0x6666667
	v_mul_hi_u32 v1, v11, s4
	v_mad_u64_u32 v[5:6], s[4:5], s16, v9, 0
	s_mul_i32 s1, s1, s19
	v_mul_u32_u24_e32 v1, 40, v1
	v_sub_u32_e32 v8, v11, v1
	v_lshlrev_b32_e32 v1, 4, v8
	global_load_dwordx4 v[1:4], v1, s[8:9] offset:128
	ds_read_b32 v11, v10 offset:4800
	ds_read_b32 v12, v10 offset:6400
	;; [unrolled: 1-line block ×4, first 2 shown]
	ds_read_b32 v15, v10
	ds_read_u16 v10, v10 offset:2
	v_mad_u64_u32 v[6:7], s[4:5], s17, v9, v[6:7]
	s_waitcnt lgkmcnt(3)
	v_lshrrev_b32_e32 v16, 16, v13
	s_waitcnt lgkmcnt(2)
	v_lshrrev_b32_e32 v17, 16, v14
	v_lshrrev_b32_e32 v18, 16, v11
	;; [unrolled: 1-line block ×3, first 2 shown]
	s_mul_hi_u32 s4, s0, s19
	s_mul_i32 s0, s0, s19
	s_add_i32 s1, s4, s1
	v_mul_hi_u32_u24_e32 v0, 0xa3d70b, v0
	s_movk_i32 s4, 0xc8
	s_lshl_b64 s[0:1], s[0:1], 2
	v_mad_u32_u24 v0, v0, s4, v8
	s_add_u32 s4, s22, s0
	v_mul_lo_u32 v0, v0, s18
	s_addc_u32 s5, s23, s1
	s_lshl_b64 s[0:1], s[2:3], 2
	s_add_u32 s0, s4, s0
	s_addc_u32 s1, s5, s1
	s_waitcnt vmcnt(0)
	v_mul_f16_sdwa v7, v2, v13 dst_sel:DWORD dst_unused:UNUSED_PAD src0_sel:WORD_1 src1_sel:DWORD
	v_mul_f16_sdwa v9, v1, v14 dst_sel:DWORD dst_unused:UNUSED_PAD src0_sel:WORD_1 src1_sel:DWORD
	;; [unrolled: 1-line block ×4, first 2 shown]
	v_fma_f16 v9, v1, v17, v9
	v_mul_f16_sdwa v17, v1, v17 dst_sel:DWORD dst_unused:UNUSED_PAD src0_sel:WORD_1 src1_sel:DWORD
	v_fma_f16 v21, v4, v19, v21
	v_mul_f16_sdwa v19, v4, v19 dst_sel:DWORD dst_unused:UNUSED_PAD src0_sel:WORD_1 src1_sel:DWORD
	;; [unrolled: 2-line block ×4, first 2 shown]
	v_fma_f16 v1, v1, v14, -v17
	v_fma_f16 v4, v4, v12, -v19
	;; [unrolled: 1-line block ×4, first 2 shown]
	v_sub_f16_e32 v16, v9, v7
	v_sub_f16_e32 v17, v21, v20
	;; [unrolled: 1-line block ×6, first 2 shown]
	v_add_f16_e32 v16, v16, v17
	v_sub_f16_e32 v17, v1, v2
	v_add_f16_e32 v18, v18, v19
	v_sub_f16_e32 v19, v4, v3
	v_sub_f16_e32 v13, v1, v4
	v_add_f16_e32 v11, v11, v12
	v_add_f16_e32 v12, v1, v4
	;; [unrolled: 1-line block ×4, first 2 shown]
	s_waitcnt lgkmcnt(1)
	v_add_f16_e32 v1, v1, v15
	v_add_f16_e32 v14, v9, v21
	v_fma_f16 v12, v12, -0.5, v15
	v_fma_f16 v15, v19, -0.5, v15
	v_sub_f16_e32 v19, v2, v3
	v_add_f16_e32 v1, v1, v2
	v_add_f16_e32 v2, v7, v20
	s_waitcnt lgkmcnt(0)
	v_fma_f16 v14, v14, -0.5, v10
	v_fma_f16 v2, v2, -0.5, v10
	v_add_f16_e32 v10, v10, v9
	v_add_f16_e32 v10, v10, v7
	v_sub_f16_e32 v7, v7, v20
	v_add_f16_e32 v10, v10, v20
	v_fma_f16 v20, v19, s12, v14
	v_fma_f16 v14, v19, s10, v14
	;; [unrolled: 1-line block ×4, first 2 shown]
	v_sub_f16_e32 v9, v9, v21
	v_fma_f16 v20, v13, s7, v20
	v_fma_f16 v13, v13, s11, v14
	;; [unrolled: 1-line block ×6, first 2 shown]
	v_add_f16_e32 v10, v10, v21
	v_fma_f16 v21, v9, s12, v15
	v_fma_f16 v15, v9, s10, v15
	;; [unrolled: 1-line block ×10, first 2 shown]
	v_add_f16_e32 v1, v1, v3
	v_lshlrev_b64 v[2:3], 2, v[5:6]
	v_add_f16_e32 v4, v1, v4
	v_mov_b32_e32 v1, 0
	v_mov_b32_e32 v5, s1
	v_add_co_u32_e32 v6, vcc, s0, v2
	v_addc_co_u32_e32 v5, vcc, v5, v3, vcc
	v_lshlrev_b64 v[2:3], 2, v[0:1]
	s_mul_i32 s0, s18, 40
	v_add_co_u32_e32 v2, vcc, v6, v2
	v_addc_co_u32_e32 v3, vcc, v5, v3, vcc
	v_pack_b32_f16 v4, v4, v10
	v_add_u32_e32 v0, s0, v0
	global_store_dword v[2:3], v4, off
	v_lshlrev_b64 v[2:3], 2, v[0:1]
	v_fma_f16 v7, v17, s6, v7
	v_add_co_u32_e32 v2, vcc, v6, v2
	v_addc_co_u32_e32 v3, vcc, v5, v3, vcc
	v_pack_b32_f16 v4, v7, v14
	v_add_u32_e32 v0, s0, v0
	global_store_dword v[2:3], v4, off
	v_lshlrev_b64 v[2:3], 2, v[0:1]
	v_fma_f16 v9, v18, s6, v9
	v_add_co_u32_e32 v2, vcc, v6, v2
	v_addc_co_u32_e32 v3, vcc, v5, v3, vcc
	v_pack_b32_f16 v4, v9, v11
	v_add_u32_e32 v0, s0, v0
	global_store_dword v[2:3], v4, off
	v_lshlrev_b64 v[2:3], 2, v[0:1]
	v_add_u32_e32 v0, s0, v0
	v_add_co_u32_e32 v2, vcc, v6, v2
	v_lshlrev_b64 v[0:1], 2, v[0:1]
	v_fma_f16 v16, v18, s6, v19
	v_addc_co_u32_e32 v3, vcc, v5, v3, vcc
	v_fma_f16 v12, v17, s6, v12
	v_pack_b32_f16 v4, v16, v15
	v_add_co_u32_e32 v0, vcc, v6, v0
	global_store_dword v[2:3], v4, off
	v_addc_co_u32_e32 v1, vcc, v5, v1, vcc
	v_pack_b32_f16 v2, v12, v13
	global_store_dword v[0:1], v2, off
.LBB0_20:
	s_endpgm
	.section	.rodata,"a",@progbits
	.p2align	6, 0x0
	.amdhsa_kernel fft_rtc_fwd_len200_factors_8_5_5_wgs_400_tpt_40_half_op_CI_CI_sbrc_unaligned_dirReg
		.amdhsa_group_segment_fixed_size 0
		.amdhsa_private_segment_fixed_size 0
		.amdhsa_kernarg_size 104
		.amdhsa_user_sgpr_count 6
		.amdhsa_user_sgpr_private_segment_buffer 1
		.amdhsa_user_sgpr_dispatch_ptr 0
		.amdhsa_user_sgpr_queue_ptr 0
		.amdhsa_user_sgpr_kernarg_segment_ptr 1
		.amdhsa_user_sgpr_dispatch_id 0
		.amdhsa_user_sgpr_flat_scratch_init 0
		.amdhsa_user_sgpr_private_segment_size 0
		.amdhsa_uses_dynamic_stack 0
		.amdhsa_system_sgpr_private_segment_wavefront_offset 0
		.amdhsa_system_sgpr_workgroup_id_x 1
		.amdhsa_system_sgpr_workgroup_id_y 0
		.amdhsa_system_sgpr_workgroup_id_z 0
		.amdhsa_system_sgpr_workgroup_info 0
		.amdhsa_system_vgpr_workitem_id 0
		.amdhsa_next_free_vgpr 25
		.amdhsa_next_free_sgpr 45
		.amdhsa_reserve_vcc 1
		.amdhsa_reserve_flat_scratch 0
		.amdhsa_float_round_mode_32 0
		.amdhsa_float_round_mode_16_64 0
		.amdhsa_float_denorm_mode_32 3
		.amdhsa_float_denorm_mode_16_64 3
		.amdhsa_dx10_clamp 1
		.amdhsa_ieee_mode 1
		.amdhsa_fp16_overflow 0
		.amdhsa_exception_fp_ieee_invalid_op 0
		.amdhsa_exception_fp_denorm_src 0
		.amdhsa_exception_fp_ieee_div_zero 0
		.amdhsa_exception_fp_ieee_overflow 0
		.amdhsa_exception_fp_ieee_underflow 0
		.amdhsa_exception_fp_ieee_inexact 0
		.amdhsa_exception_int_div_zero 0
	.end_amdhsa_kernel
	.text
.Lfunc_end0:
	.size	fft_rtc_fwd_len200_factors_8_5_5_wgs_400_tpt_40_half_op_CI_CI_sbrc_unaligned_dirReg, .Lfunc_end0-fft_rtc_fwd_len200_factors_8_5_5_wgs_400_tpt_40_half_op_CI_CI_sbrc_unaligned_dirReg
                                        ; -- End function
	.section	.AMDGPU.csdata,"",@progbits
; Kernel info:
; codeLenInByte = 3796
; NumSgprs: 49
; NumVgprs: 25
; ScratchSize: 0
; MemoryBound: 0
; FloatMode: 240
; IeeeMode: 1
; LDSByteSize: 0 bytes/workgroup (compile time only)
; SGPRBlocks: 6
; VGPRBlocks: 6
; NumSGPRsForWavesPerEU: 49
; NumVGPRsForWavesPerEU: 25
; Occupancy: 9
; WaveLimiterHint : 1
; COMPUTE_PGM_RSRC2:SCRATCH_EN: 0
; COMPUTE_PGM_RSRC2:USER_SGPR: 6
; COMPUTE_PGM_RSRC2:TRAP_HANDLER: 0
; COMPUTE_PGM_RSRC2:TGID_X_EN: 1
; COMPUTE_PGM_RSRC2:TGID_Y_EN: 0
; COMPUTE_PGM_RSRC2:TGID_Z_EN: 0
; COMPUTE_PGM_RSRC2:TIDIG_COMP_CNT: 0
	.type	__hip_cuid_814043457e0e4ae0,@object ; @__hip_cuid_814043457e0e4ae0
	.section	.bss,"aw",@nobits
	.globl	__hip_cuid_814043457e0e4ae0
__hip_cuid_814043457e0e4ae0:
	.byte	0                               ; 0x0
	.size	__hip_cuid_814043457e0e4ae0, 1

	.ident	"AMD clang version 19.0.0git (https://github.com/RadeonOpenCompute/llvm-project roc-6.4.0 25133 c7fe45cf4b819c5991fe208aaa96edf142730f1d)"
	.section	".note.GNU-stack","",@progbits
	.addrsig
	.addrsig_sym __hip_cuid_814043457e0e4ae0
	.amdgpu_metadata
---
amdhsa.kernels:
  - .args:
      - .actual_access:  read_only
        .address_space:  global
        .offset:         0
        .size:           8
        .value_kind:     global_buffer
      - .offset:         8
        .size:           8
        .value_kind:     by_value
      - .actual_access:  read_only
        .address_space:  global
        .offset:         16
        .size:           8
        .value_kind:     global_buffer
      - .actual_access:  read_only
        .address_space:  global
        .offset:         24
        .size:           8
        .value_kind:     global_buffer
      - .actual_access:  read_only
        .address_space:  global
        .offset:         32
        .size:           8
        .value_kind:     global_buffer
      - .offset:         40
        .size:           8
        .value_kind:     by_value
      - .actual_access:  read_only
        .address_space:  global
        .offset:         48
        .size:           8
        .value_kind:     global_buffer
      - .actual_access:  read_only
        .address_space:  global
        .offset:         56
        .size:           8
        .value_kind:     global_buffer
      - .offset:         64
        .size:           4
        .value_kind:     by_value
      - .actual_access:  read_only
        .address_space:  global
        .offset:         72
        .size:           8
        .value_kind:     global_buffer
      - .actual_access:  read_only
        .address_space:  global
        .offset:         80
        .size:           8
        .value_kind:     global_buffer
      - .actual_access:  read_only
        .address_space:  global
        .offset:         88
        .size:           8
        .value_kind:     global_buffer
      - .actual_access:  write_only
        .address_space:  global
        .offset:         96
        .size:           8
        .value_kind:     global_buffer
    .group_segment_fixed_size: 0
    .kernarg_segment_align: 8
    .kernarg_segment_size: 104
    .language:       OpenCL C
    .language_version:
      - 2
      - 0
    .max_flat_workgroup_size: 400
    .name:           fft_rtc_fwd_len200_factors_8_5_5_wgs_400_tpt_40_half_op_CI_CI_sbrc_unaligned_dirReg
    .private_segment_fixed_size: 0
    .sgpr_count:     49
    .sgpr_spill_count: 0
    .symbol:         fft_rtc_fwd_len200_factors_8_5_5_wgs_400_tpt_40_half_op_CI_CI_sbrc_unaligned_dirReg.kd
    .uniform_work_group_size: 1
    .uses_dynamic_stack: false
    .vgpr_count:     25
    .vgpr_spill_count: 0
    .wavefront_size: 64
amdhsa.target:   amdgcn-amd-amdhsa--gfx906
amdhsa.version:
  - 1
  - 2
...

	.end_amdgpu_metadata
